;; amdgpu-corpus repo=ROCm/rocFFT kind=compiled arch=gfx1030 opt=O3
	.text
	.amdgcn_target "amdgcn-amd-amdhsa--gfx1030"
	.amdhsa_code_object_version 6
	.protected	fft_rtc_back_len169_factors_13_13_wgs_156_tpt_13_dp_op_CI_CI_sbcc_dirReg_intrinsicRead ; -- Begin function fft_rtc_back_len169_factors_13_13_wgs_156_tpt_13_dp_op_CI_CI_sbcc_dirReg_intrinsicRead
	.globl	fft_rtc_back_len169_factors_13_13_wgs_156_tpt_13_dp_op_CI_CI_sbcc_dirReg_intrinsicRead
	.p2align	8
	.type	fft_rtc_back_len169_factors_13_13_wgs_156_tpt_13_dp_op_CI_CI_sbcc_dirReg_intrinsicRead,@function
fft_rtc_back_len169_factors_13_13_wgs_156_tpt_13_dp_op_CI_CI_sbcc_dirReg_intrinsicRead: ; @fft_rtc_back_len169_factors_13_13_wgs_156_tpt_13_dp_op_CI_CI_sbcc_dirReg_intrinsicRead
; %bb.0:
	s_clause 0x1
	s_load_dwordx4 s[16:19], s[4:5], 0x18
	s_load_dwordx2 s[20:21], s[4:5], 0x28
	s_mov_b64 s[24:25], 0
	s_waitcnt lgkmcnt(0)
	s_load_dwordx2 s[28:29], s[16:17], 0x8
	s_waitcnt lgkmcnt(0)
	s_add_u32 s0, s28, -1
	s_addc_u32 s1, s29, -1
	s_add_u32 s2, 0, 0x55540000
	s_addc_u32 s3, 0, 0x55
	s_mul_hi_u32 s8, s2, -12
	s_add_i32 s3, s3, 0x15555500
	s_sub_i32 s8, s8, s2
	s_mul_i32 s10, s3, -12
	s_mul_i32 s7, s2, -12
	s_add_i32 s8, s8, s10
	s_mul_hi_u32 s9, s2, s7
	s_mul_i32 s12, s2, s8
	s_mul_hi_u32 s10, s2, s8
	s_mul_hi_u32 s11, s3, s7
	s_mul_i32 s7, s3, s7
	s_add_u32 s9, s9, s12
	s_addc_u32 s10, 0, s10
	s_mul_hi_u32 s13, s3, s8
	s_add_u32 s7, s9, s7
	s_mul_i32 s8, s3, s8
	s_addc_u32 s7, s10, s11
	s_addc_u32 s9, s13, 0
	s_add_u32 s7, s7, s8
	v_add_co_u32 v1, s2, s2, s7
	s_addc_u32 s7, 0, s9
	s_cmp_lg_u32 s2, 0
	s_addc_u32 s2, s3, s7
	v_readfirstlane_b32 s3, v1
	s_mul_i32 s8, s0, s2
	s_mul_hi_u32 s7, s0, s2
	s_mul_hi_u32 s9, s1, s2
	s_mul_i32 s2, s1, s2
	s_mul_hi_u32 s10, s0, s3
	s_mul_hi_u32 s11, s1, s3
	s_mul_i32 s3, s1, s3
	s_add_u32 s8, s10, s8
	s_addc_u32 s7, 0, s7
	s_add_u32 s3, s8, s3
	s_addc_u32 s3, s7, s11
	s_addc_u32 s7, s9, 0
	s_add_u32 s2, s3, s2
	s_addc_u32 s3, 0, s7
	s_mul_i32 s8, s2, 12
	s_add_u32 s7, s2, 1
	v_sub_co_u32 v1, s0, s0, s8
	s_mul_hi_u32 s8, s2, 12
	s_addc_u32 s9, s3, 0
	s_mul_i32 s10, s3, 12
	v_sub_co_u32 v2, s11, v1, 12
	s_add_u32 s12, s2, 2
	s_addc_u32 s13, s3, 0
	s_add_i32 s8, s8, s10
	s_cmp_lg_u32 s0, 0
	v_readfirstlane_b32 s0, v2
	s_subb_u32 s1, s1, s8
	s_cmp_lg_u32 s11, 0
	s_subb_u32 s8, s1, 0
	s_cmp_gt_u32 s0, 11
	s_cselect_b32 s0, -1, 0
	s_cmp_eq_u32 s8, 0
	v_readfirstlane_b32 s8, v1
	s_cselect_b32 s0, s0, -1
	s_cmp_lg_u32 s0, 0
	s_cselect_b32 s0, s12, s7
	s_cselect_b32 s9, s13, s9
	s_cmp_gt_u32 s8, 11
	s_cselect_b32 s7, -1, 0
	s_cmp_eq_u32 s1, 0
	s_cselect_b32 s1, s7, -1
	s_mov_b32 s7, 0
	s_cmp_lg_u32 s1, 0
	s_cselect_b32 s0, s0, s2
	s_cselect_b32 s1, s9, s3
	s_add_u32 s26, s0, 1
	s_addc_u32 s27, s1, 0
	v_cmp_lt_u64_e64 s0, s[6:7], s[26:27]
	s_and_b32 vcc_lo, exec_lo, s0
	s_cbranch_vccnz .LBB0_2
; %bb.1:
	v_cvt_f32_u32_e32 v1, s26
	s_sub_i32 s1, 0, s26
	s_mov_b32 s25, s7
	v_rcp_iflag_f32_e32 v1, v1
	v_mul_f32_e32 v1, 0x4f7ffffe, v1
	v_cvt_u32_f32_e32 v1, v1
	v_readfirstlane_b32 s0, v1
	s_mul_i32 s1, s1, s0
	s_mul_hi_u32 s1, s0, s1
	s_add_i32 s0, s0, s1
	s_mul_hi_u32 s0, s6, s0
	s_mul_i32 s1, s0, s26
	s_add_i32 s2, s0, 1
	s_sub_i32 s1, s6, s1
	s_sub_i32 s3, s1, s26
	s_cmp_ge_u32 s1, s26
	s_cselect_b32 s0, s2, s0
	s_cselect_b32 s1, s3, s1
	s_add_i32 s2, s0, 1
	s_cmp_ge_u32 s1, s26
	s_cselect_b32 s24, s2, s0
.LBB0_2:
	s_load_dwordx4 s[12:15], s[18:19], 0x0
	s_load_dwordx4 s[0:3], s[20:21], 0x0
	s_clause 0x1
	s_load_dwordx2 s[30:31], s[4:5], 0x10
	s_load_dwordx2 s[44:45], s[4:5], 0x0
	s_mul_i32 s8, s24, s27
	s_mul_hi_u32 s9, s24, s26
	s_mul_i32 s10, s24, s26
	s_add_i32 s9, s9, s8
	s_sub_u32 s33, s6, s10
	s_subb_u32 s8, 0, s9
	s_waitcnt lgkmcnt(0)
	s_mul_hi_u32 s13, s33, 12
	s_mul_i32 s22, s8, 12
	s_load_dwordx4 s[8:11], s[4:5], 0x60
	s_add_i32 s13, s13, s22
	s_mul_i32 s33, s33, 12
	s_mul_i32 s4, s14, s13
	s_mul_hi_u32 s5, s14, s33
	v_cmp_lt_u64_e64 s35, s[30:31], 3
	s_mul_i32 s22, s2, s13
	s_mul_hi_u32 s23, s2, s33
	s_mul_i32 s15, s15, s33
	s_mul_i32 s34, s3, s33
	s_add_i32 s4, s5, s4
	s_add_i32 s5, s23, s22
	;; [unrolled: 1-line block ×3, first 2 shown]
	s_mul_i32 s15, s14, s33
	s_add_i32 s23, s5, s34
	s_and_b32 vcc_lo, exec_lo, s35
	s_mul_i32 s22, s2, s33
	s_cbranch_vccnz .LBB0_12
; %bb.3:
	s_add_u32 s4, s20, 16
	s_addc_u32 s5, s21, 0
	s_add_u32 s34, s18, 16
	s_addc_u32 s35, s19, 0
	;; [unrolled: 2-line block ×3, first 2 shown]
	s_mov_b64 s[36:37], 2
	s_mov_b32 s38, 0
.LBB0_4:                                ; =>This Inner Loop Header: Depth=1
	s_load_dwordx2 s[40:41], s[16:17], 0x0
	s_waitcnt lgkmcnt(0)
	s_or_b64 s[42:43], s[24:25], s[40:41]
	s_mov_b32 s39, s43
                                        ; implicit-def: $sgpr42_sgpr43
	s_cmp_lg_u64 s[38:39], 0
	s_mov_b32 s39, -1
	s_cbranch_scc0 .LBB0_6
; %bb.5:                                ;   in Loop: Header=BB0_4 Depth=1
	v_cvt_f32_u32_e32 v1, s40
	v_cvt_f32_u32_e32 v2, s41
	s_sub_u32 s43, 0, s40
	s_subb_u32 s47, 0, s41
	v_fmac_f32_e32 v1, 0x4f800000, v2
	v_rcp_f32_e32 v1, v1
	v_mul_f32_e32 v1, 0x5f7ffffc, v1
	v_mul_f32_e32 v2, 0x2f800000, v1
	v_trunc_f32_e32 v2, v2
	v_fmac_f32_e32 v1, 0xcf800000, v2
	v_cvt_u32_f32_e32 v2, v2
	v_cvt_u32_f32_e32 v1, v1
	v_readfirstlane_b32 s39, v2
	v_readfirstlane_b32 s42, v1
	s_mul_i32 s48, s43, s39
	s_mul_hi_u32 s50, s43, s42
	s_mul_i32 s49, s47, s42
	s_add_i32 s48, s50, s48
	s_mul_i32 s51, s43, s42
	s_add_i32 s48, s48, s49
	s_mul_hi_u32 s50, s42, s51
	s_mul_hi_u32 s52, s39, s51
	s_mul_i32 s49, s39, s51
	s_mul_hi_u32 s51, s42, s48
	s_mul_i32 s42, s42, s48
	s_mul_hi_u32 s53, s39, s48
	s_add_u32 s42, s50, s42
	s_addc_u32 s50, 0, s51
	s_add_u32 s42, s42, s49
	s_mul_i32 s48, s39, s48
	s_addc_u32 s42, s50, s52
	s_addc_u32 s49, s53, 0
	s_add_u32 s42, s42, s48
	s_addc_u32 s48, 0, s49
	v_add_co_u32 v1, s42, v1, s42
	s_cmp_lg_u32 s42, 0
	s_addc_u32 s39, s39, s48
	v_readfirstlane_b32 s42, v1
	s_mul_i32 s48, s43, s39
	s_mul_hi_u32 s49, s43, s42
	s_mul_i32 s47, s47, s42
	s_add_i32 s48, s49, s48
	s_mul_i32 s43, s43, s42
	s_add_i32 s48, s48, s47
	s_mul_hi_u32 s49, s39, s43
	s_mul_i32 s50, s39, s43
	s_mul_hi_u32 s43, s42, s43
	s_mul_hi_u32 s51, s42, s48
	s_mul_i32 s42, s42, s48
	s_mul_hi_u32 s47, s39, s48
	s_add_u32 s42, s43, s42
	s_addc_u32 s43, 0, s51
	s_add_u32 s42, s42, s50
	s_mul_i32 s48, s39, s48
	s_addc_u32 s42, s43, s49
	s_addc_u32 s43, s47, 0
	s_add_u32 s42, s42, s48
	s_addc_u32 s43, 0, s43
	v_add_co_u32 v1, s42, v1, s42
	s_cmp_lg_u32 s42, 0
	s_addc_u32 s39, s39, s43
	v_readfirstlane_b32 s42, v1
	s_mul_i32 s47, s24, s39
	s_mul_hi_u32 s43, s24, s39
	s_mul_hi_u32 s48, s25, s39
	s_mul_i32 s39, s25, s39
	s_mul_hi_u32 s49, s24, s42
	s_mul_hi_u32 s50, s25, s42
	s_mul_i32 s42, s25, s42
	s_add_u32 s47, s49, s47
	s_addc_u32 s43, 0, s43
	s_add_u32 s42, s47, s42
	s_addc_u32 s42, s43, s50
	s_addc_u32 s43, s48, 0
	s_add_u32 s42, s42, s39
	s_addc_u32 s43, 0, s43
	s_mul_hi_u32 s39, s40, s42
	s_mul_i32 s48, s40, s43
	s_mul_i32 s49, s40, s42
	s_add_i32 s39, s39, s48
	v_sub_co_u32 v1, s48, s24, s49
	s_mul_i32 s47, s41, s42
	s_add_i32 s39, s39, s47
	v_sub_co_u32 v2, s49, v1, s40
	s_sub_i32 s47, s25, s39
	s_cmp_lg_u32 s48, 0
	s_subb_u32 s47, s47, s41
	s_cmp_lg_u32 s49, 0
	v_readfirstlane_b32 s49, v2
	s_subb_u32 s47, s47, 0
	s_cmp_ge_u32 s47, s41
	s_cselect_b32 s50, -1, 0
	s_cmp_ge_u32 s49, s40
	s_cselect_b32 s49, -1, 0
	s_cmp_eq_u32 s47, s41
	s_cselect_b32 s47, s49, s50
	s_add_u32 s49, s42, 1
	s_addc_u32 s50, s43, 0
	s_add_u32 s51, s42, 2
	s_addc_u32 s52, s43, 0
	s_cmp_lg_u32 s47, 0
	s_cselect_b32 s47, s51, s49
	s_cselect_b32 s49, s52, s50
	s_cmp_lg_u32 s48, 0
	v_readfirstlane_b32 s48, v1
	s_subb_u32 s39, s25, s39
	s_cmp_ge_u32 s39, s41
	s_cselect_b32 s50, -1, 0
	s_cmp_ge_u32 s48, s40
	s_cselect_b32 s48, -1, 0
	s_cmp_eq_u32 s39, s41
	s_cselect_b32 s39, s48, s50
	s_cmp_lg_u32 s39, 0
	s_mov_b32 s39, 0
	s_cselect_b32 s43, s49, s43
	s_cselect_b32 s42, s47, s42
.LBB0_6:                                ;   in Loop: Header=BB0_4 Depth=1
	s_andn2_b32 vcc_lo, exec_lo, s39
	s_cbranch_vccnz .LBB0_8
; %bb.7:                                ;   in Loop: Header=BB0_4 Depth=1
	v_cvt_f32_u32_e32 v1, s40
	s_sub_i32 s42, 0, s40
	v_rcp_iflag_f32_e32 v1, v1
	v_mul_f32_e32 v1, 0x4f7ffffe, v1
	v_cvt_u32_f32_e32 v1, v1
	v_readfirstlane_b32 s39, v1
	s_mul_i32 s42, s42, s39
	s_mul_hi_u32 s42, s39, s42
	s_add_i32 s39, s39, s42
	s_mul_hi_u32 s39, s24, s39
	s_mul_i32 s42, s39, s40
	s_add_i32 s43, s39, 1
	s_sub_i32 s42, s24, s42
	s_sub_i32 s47, s42, s40
	s_cmp_ge_u32 s42, s40
	s_cselect_b32 s39, s43, s39
	s_cselect_b32 s42, s47, s42
	s_add_i32 s43, s39, 1
	s_cmp_ge_u32 s42, s40
	s_cselect_b32 s42, s43, s39
	s_mov_b32 s43, s38
.LBB0_8:                                ;   in Loop: Header=BB0_4 Depth=1
	s_load_dwordx2 s[48:49], s[34:35], 0x0
	s_load_dwordx2 s[50:51], s[4:5], 0x0
	s_mul_i32 s27, s40, s27
	s_mul_hi_u32 s39, s40, s26
	s_mul_i32 s47, s41, s26
	s_mul_i32 s41, s42, s41
	s_mul_hi_u32 s52, s42, s40
	s_mul_i32 s53, s43, s40
	s_add_i32 s27, s39, s27
	s_add_i32 s39, s52, s41
	s_mul_i32 s54, s42, s40
	s_add_i32 s27, s27, s47
	s_add_i32 s39, s39, s53
	s_sub_u32 s24, s24, s54
	s_subb_u32 s25, s25, s39
	s_mul_i32 s26, s40, s26
	s_waitcnt lgkmcnt(0)
	s_mul_i32 s39, s48, s25
	s_mul_hi_u32 s41, s48, s24
	s_mul_i32 s47, s49, s24
	s_add_i32 s39, s41, s39
	s_mul_i32 s48, s48, s24
	s_mul_i32 s25, s50, s25
	s_mul_hi_u32 s41, s50, s24
	s_add_i32 s39, s39, s47
	s_add_u32 s15, s48, s15
	s_addc_u32 s46, s39, s46
	s_add_i32 s25, s41, s25
	s_mul_i32 s39, s51, s24
	s_mul_i32 s24, s50, s24
	s_add_i32 s25, s25, s39
	s_add_u32 s22, s24, s22
	s_addc_u32 s23, s25, s23
	s_add_u32 s36, s36, 1
	s_addc_u32 s37, s37, 0
	s_add_u32 s4, s4, 8
	v_cmp_ge_u64_e64 s24, s[36:37], s[30:31]
	s_addc_u32 s5, s5, 0
	s_add_u32 s34, s34, 8
	s_addc_u32 s35, s35, 0
	s_add_u32 s16, s16, 8
	s_addc_u32 s17, s17, 0
	s_and_b32 vcc_lo, exec_lo, s24
	s_cbranch_vccnz .LBB0_10
; %bb.9:                                ;   in Loop: Header=BB0_4 Depth=1
	s_mov_b64 s[24:25], s[42:43]
	s_branch .LBB0_4
.LBB0_10:
	v_cmp_lt_u64_e64 s4, s[6:7], s[26:27]
	s_mov_b64 s[24:25], 0
	s_and_b32 vcc_lo, exec_lo, s4
	s_cbranch_vccnz .LBB0_12
; %bb.11:
	v_cvt_f32_u32_e32 v1, s26
	s_sub_i32 s5, 0, s26
	v_rcp_iflag_f32_e32 v1, v1
	v_mul_f32_e32 v1, 0x4f7ffffe, v1
	v_cvt_u32_f32_e32 v1, v1
	v_readfirstlane_b32 s4, v1
	s_mul_i32 s5, s5, s4
	s_mul_hi_u32 s5, s4, s5
	s_add_i32 s4, s4, s5
	s_mul_hi_u32 s4, s6, s4
	s_mul_i32 s5, s4, s26
	s_sub_i32 s5, s6, s5
	s_add_i32 s6, s4, 1
	s_sub_i32 s7, s5, s26
	s_cmp_ge_u32 s5, s26
	s_cselect_b32 s4, s6, s4
	s_cselect_b32 s5, s7, s5
	s_add_i32 s6, s4, 1
	s_cmp_ge_u32 s5, s26
	s_cselect_b32 s24, s6, s4
.LBB0_12:
	v_mul_u32_u24_e32 v1, 0x1556, v0
	s_lshl_b64 s[26:27], s[30:31], 3
	s_mov_b32 s7, 0x31014000
	s_add_u32 s4, s18, s26
	s_addc_u32 s5, s19, s27
	v_lshrrev_b32_e32 v114, 16, v1
	s_load_dword s4, s[4:5], 0x0
	s_mov_b32 s6, -2
	s_mov_b32 s52, 0x4267c47c
	s_mov_b32 s40, 0x42a4c3d2
	v_mul_lo_u16 v1, v114, 12
	v_add_nc_u32_e32 v4, 13, v114
	v_mul_lo_u32 v3, s12, v114
	v_add_nc_u32_e32 v10, 26, v114
	v_add_nc_u32_e32 v14, 39, v114
	v_sub_nc_u16 v1, v0, v1
	v_mul_lo_u32 v4, s12, v4
	v_add_nc_u32_e32 v18, 52, v114
	v_mul_lo_u32 v10, s12, v10
	v_mul_lo_u32 v14, s12, v14
	v_and_b32_e32 v113, 0xffff, v1
	v_add_nc_u32_e32 v22, 0x41, v114
	v_mul_lo_u32 v18, s12, v18
	v_add_nc_u32_e32 v26, 0x4e, v114
	v_add_nc_u32_e32 v30, 0x5b, v114
	v_add_co_u32 v1, s5, s33, v113
	s_waitcnt lgkmcnt(0)
	s_mul_i32 s4, s4, s24
	v_mul_lo_u32 v9, s14, v113
	v_add_co_ci_u32_e64 v2, null, s13, 0, s5
	s_add_i32 s14, s4, s15
	s_add_u32 s4, s33, 12
	s_addc_u32 s5, s13, 0
	v_cmp_gt_u64_e32 vcc_lo, s[28:29], v[1:2]
	v_cmp_le_u64_e64 s5, s[4:5], s[28:29]
	v_add_lshl_u32 v1, v9, v3, 4
	v_add_lshl_u32 v2, v9, v4, 4
	s_mov_b32 s4, s8
	s_lshl_b32 s8, s14, 4
	v_add_lshl_u32 v10, v9, v10, 4
	s_or_b32 vcc_lo, s5, vcc_lo
	s_mov_b32 s5, s9
	v_cndmask_b32_e32 v1, -1, v1, vcc_lo
	v_cndmask_b32_e32 v2, -1, v2, vcc_lo
	s_clause 0x1
	buffer_load_dwordx4 v[5:8], v1, s[4:7], s8 offen
	buffer_load_dwordx4 v[1:4], v2, s[4:7], s8 offen
	v_cndmask_b32_e32 v10, -1, v10, vcc_lo
	v_add_lshl_u32 v14, v9, v14, 4
	v_add_lshl_u32 v18, v9, v18, 4
	v_mul_lo_u32 v22, s12, v22
	v_mul_lo_u32 v26, s12, v26
	buffer_load_dwordx4 v[10:13], v10, s[4:7], s8 offen
	v_cndmask_b32_e32 v14, -1, v14, vcc_lo
	v_cndmask_b32_e32 v18, -1, v18, vcc_lo
	v_mul_lo_u32 v30, s12, v30
	v_add_nc_u32_e32 v31, 0x68, v114
	v_add_nc_u32_e32 v32, 0x75, v114
	s_clause 0x1
	buffer_load_dwordx4 v[14:17], v14, s[4:7], s8 offen
	buffer_load_dwordx4 v[18:21], v18, s[4:7], s8 offen
	v_add_lshl_u32 v22, v9, v22, 4
	v_add_lshl_u32 v26, v9, v26, 4
	v_mul_lo_u32 v34, s12, v31
	v_add_lshl_u32 v30, v9, v30, 4
	v_mul_lo_u32 v35, s12, v32
	v_cndmask_b32_e32 v22, -1, v22, vcc_lo
	v_cndmask_b32_e32 v26, -1, v26, vcc_lo
	v_add_nc_u32_e32 v43, 0x8f, v114
	v_cndmask_b32_e32 v30, -1, v30, vcc_lo
	v_add_nc_u32_e32 v42, 0x82, v114
	s_clause 0x1
	buffer_load_dwordx4 v[22:25], v22, s[4:7], s8 offen
	buffer_load_dwordx4 v[26:29], v26, s[4:7], s8 offen
	v_add_lshl_u32 v35, v9, v35, 4
	buffer_load_dwordx4 v[30:33], v30, s[4:7], s8 offen
	v_add_lshl_u32 v34, v9, v34, 4
	v_mul_lo_u32 v43, s12, v43
	v_mul_lo_u32 v42, s12, v42
	v_cndmask_b32_e32 v35, -1, v35, vcc_lo
	s_mov_b32 s46, 0x66966769
	v_cndmask_b32_e32 v38, -1, v34, vcc_lo
	s_clause 0x1
	buffer_load_dwordx4 v[34:37], v35, s[4:7], s8 offen
	buffer_load_dwordx4 v[53:56], v38, s[4:7], s8 offen
	s_mov_b32 s18, 0x2ef20147
	s_mov_b32 s28, 0x24c2f84
	;; [unrolled: 1-line block ×25, first 2 shown]
	s_waitcnt vmcnt(8)
	v_add_f64 v[40:41], v[7:8], v[3:4]
	v_add_f64 v[38:39], v[5:6], v[1:2]
	s_waitcnt vmcnt(7)
	v_add_f64 v[40:41], v[40:41], v[12:13]
	v_add_f64 v[38:39], v[38:39], v[10:11]
	s_waitcnt vmcnt(2)
	v_add_f64 v[61:62], v[28:29], v[32:33]
	v_add_f64 v[63:64], v[28:29], -v[32:33]
	s_waitcnt vmcnt(1)
	v_add_f64 v[51:52], v[18:19], v[34:35]
	v_add_f64 v[69:70], v[20:21], v[36:37]
	v_add_f64 v[71:72], v[20:21], -v[36:37]
	s_waitcnt vmcnt(0)
	v_add_f64 v[47:48], v[22:23], v[53:54]
	v_add_f64 v[65:66], v[24:25], v[55:56]
	v_add_f64 v[45:46], v[22:23], -v[53:54]
	v_add_f64 v[67:68], v[24:25], -v[55:56]
	v_add_f64 v[40:41], v[40:41], v[16:17]
	v_add_f64 v[38:39], v[38:39], v[14:15]
	v_mul_f64 v[133:134], v[63:64], s[38:39]
	v_mul_f64 v[131:132], v[65:66], s[14:15]
	v_add_f64 v[40:41], v[40:41], v[20:21]
	v_add_f64 v[38:39], v[38:39], v[18:19]
	;; [unrolled: 1-line block ×7, first 2 shown]
	v_add_lshl_u32 v41, v9, v43, 4
	v_add_lshl_u32 v40, v9, v42, 4
	v_add_f64 v[38:39], v[38:39], v[30:31]
	v_add_f64 v[43:44], v[26:27], v[30:31]
	v_cndmask_b32_e32 v57, -1, v41, vcc_lo
	v_cndmask_b32_e32 v40, -1, v40, vcc_lo
	v_add_f64 v[41:42], v[26:27], -v[30:31]
	buffer_load_dwordx4 v[22:25], v40, s[4:7], s8 offen
	v_add_f64 v[28:29], v[49:50], v[55:56]
	v_add_f64 v[49:50], v[18:19], -v[34:35]
	buffer_load_dwordx4 v[18:21], v57, s[4:7], s8 offen
	v_add_f64 v[26:27], v[38:39], v[53:54]
	v_add_f64 v[28:29], v[28:29], v[36:37]
	;; [unrolled: 1-line block ×3, first 2 shown]
	s_waitcnt vmcnt(0)
	v_add_f64 v[59:60], v[10:11], v[18:19]
	v_add_f64 v[57:58], v[10:11], -v[18:19]
	v_add_nc_u32_e32 v10, 0x9c, v114
	v_add_f64 v[77:78], v[12:13], v[20:21]
	v_add_f64 v[79:80], v[12:13], -v[20:21]
	v_mul_lo_u32 v10, s12, v10
	s_mov_b32 s12, 0x1ea71119
	s_mov_b32 s13, 0x3fe22d96
	v_add_lshl_u32 v9, v9, v10, 4
	v_cndmask_b32_e32 v9, -1, v9, vcc_lo
	buffer_load_dwordx4 v[9:12], v9, s[4:7], s8 offen
	v_add_f64 v[55:56], v[14:15], v[22:23]
	v_add_f64 v[73:74], v[16:17], v[24:25]
	v_add_f64 v[53:54], v[14:15], -v[22:23]
	v_add_f64 v[75:76], v[16:17], -v[24:25]
	v_add_f64 v[14:15], v[26:27], v[22:23]
	v_add_f64 v[16:17], v[28:29], v[24:25]
	s_mov_b32 s6, 0xe00740e9
	s_mov_b32 s8, 0xd0032e0c
	;; [unrolled: 1-line block ×6, first 2 shown]
	v_mul_f64 v[103:104], v[77:78], s[12:13]
	v_mul_f64 v[107:108], v[73:74], s[14:15]
	;; [unrolled: 1-line block ×3, first 2 shown]
	v_add_f64 v[13:14], v[14:15], v[18:19]
	v_add_f64 v[15:16], v[16:17], v[20:21]
	s_waitcnt vmcnt(0)
	v_add_f64 v[17:18], v[3:4], -v[11:12]
	v_add_f64 v[19:20], v[1:2], v[9:10]
	v_add_f64 v[21:22], v[3:4], v[11:12]
	v_add_f64 v[23:24], v[1:2], -v[9:10]
	v_add_f64 v[1:2], v[13:14], v[9:10]
	v_add_f64 v[3:4], v[15:16], v[11:12]
	v_mul_f64 v[9:10], v[17:18], s[52:53]
	v_mul_f64 v[11:12], v[17:18], s[40:41]
	;; [unrolled: 1-line block ×10, first 2 shown]
	v_fma_f64 v[27:28], v[19:20], s[6:7], v[9:10]
	v_fma_f64 v[9:10], v[19:20], s[6:7], -v[9:10]
	v_fma_f64 v[29:30], v[19:20], s[12:13], v[11:12]
	v_fma_f64 v[11:12], v[19:20], s[12:13], -v[11:12]
	;; [unrolled: 2-line block ×6, first 2 shown]
	v_mul_f64 v[19:20], v[21:22], s[6:7]
	v_mul_f64 v[21:22], v[21:22], s[4:5]
	v_fma_f64 v[97:98], v[23:24], s[18:19], v[83:84]
	v_fma_f64 v[89:90], v[23:24], s[36:37], v[39:40]
	;; [unrolled: 1-line block ×8, first 2 shown]
	v_add_f64 v[81:82], v[5:6], v[9:10]
	v_add_f64 v[9:10], v[5:6], v[29:30]
	;; [unrolled: 1-line block ×10, first 2 shown]
	v_fma_f64 v[13:14], v[55:56], s[14:15], v[105:106]
	v_fma_f64 v[87:88], v[23:24], s[38:39], v[19:20]
	;; [unrolled: 1-line block ×5, first 2 shown]
	v_add_f64 v[23:24], v[5:6], v[27:28]
	v_add_f64 v[123:124], v[7:8], v[97:98]
	;; [unrolled: 1-line block ×9, first 2 shown]
	v_mul_f64 v[99:100], v[71:72], s[18:19]
	v_mul_f64 v[93:94], v[69:70], s[16:17]
	;; [unrolled: 1-line block ×7, first 2 shown]
	v_add_f64 v[27:28], v[7:8], v[87:88]
	v_add_f64 v[109:110], v[7:8], v[101:102]
	v_mul_f64 v[101:102], v[79:80], s[40:41]
	v_add_f64 v[83:84], v[7:8], v[19:20]
	v_add_f64 v[19:20], v[7:8], v[89:90]
	;; [unrolled: 1-line block ×3, first 2 shown]
	v_fma_f64 v[7:8], v[57:58], s[36:37], v[103:104]
	v_mul_f64 v[89:90], v[65:66], s[8:9]
	v_mul_f64 v[87:88], v[63:64], s[30:31]
	;; [unrolled: 1-line block ×3, first 2 shown]
	v_fma_f64 v[5:6], v[59:60], s[12:13], v[101:102]
	v_add_f64 v[7:8], v[7:8], v[27:28]
	v_mul_f64 v[27:28], v[69:70], s[8:9]
	v_add_f64 v[5:6], v[5:6], v[23:24]
	v_mul_f64 v[23:24], v[73:74], s[4:5]
	v_add_f64 v[5:6], v[13:14], v[5:6]
	v_fma_f64 v[13:14], v[53:54], s[34:35], v[107:108]
	v_add_f64 v[7:8], v[13:14], v[7:8]
	v_fma_f64 v[13:14], v[51:52], s[16:17], v[99:100]
	;; [unrolled: 2-line block ×8, first 2 shown]
	v_fma_f64 v[17:18], v[59:60], s[16:17], -v[17:18]
	v_add_f64 v[9:10], v[13:14], v[9:10]
	v_fma_f64 v[13:14], v[57:58], s[50:51], v[21:22]
	v_add_f64 v[11:12], v[17:18], v[11:12]
	v_fma_f64 v[17:18], v[57:58], s[18:19], v[21:22]
	v_add_f64 v[13:14], v[13:14], v[19:20]
	v_mul_f64 v[19:20], v[75:76], s[30:31]
	v_add_f64 v[17:18], v[17:18], v[29:30]
	v_mul_f64 v[29:30], v[73:74], s[16:17]
	v_fma_f64 v[15:16], v[55:56], s[4:5], v[19:20]
	v_fma_f64 v[19:20], v[55:56], s[4:5], -v[19:20]
	v_add_f64 v[9:10], v[15:16], v[9:10]
	v_fma_f64 v[15:16], v[53:54], s[42:43], v[23:24]
	v_add_f64 v[11:12], v[19:20], v[11:12]
	v_fma_f64 v[19:20], v[53:54], s[30:31], v[23:24]
	;; [unrolled: 2-line block ×3, first 2 shown]
	v_add_f64 v[17:18], v[19:20], v[17:18]
	v_fma_f64 v[19:20], v[51:52], s[8:9], -v[25:26]
	v_mul_f64 v[25:26], v[77:78], s[4:5]
	v_add_f64 v[9:10], v[15:16], v[9:10]
	v_fma_f64 v[15:16], v[49:50], s[28:29], v[27:28]
	v_add_f64 v[11:12], v[19:20], v[11:12]
	v_fma_f64 v[19:20], v[49:50], s[48:49], v[27:28]
	v_mul_f64 v[27:28], v[75:76], s[50:51]
	v_add_f64 v[13:14], v[15:16], v[13:14]
	v_fma_f64 v[15:16], v[47:48], s[14:15], v[37:38]
	v_add_f64 v[17:18], v[19:20], v[17:18]
	v_fma_f64 v[19:20], v[47:48], s[14:15], -v[37:38]
	v_fma_f64 v[23:24], v[55:56], s[16:17], v[27:28]
	v_mul_f64 v[37:38], v[69:70], s[6:7]
	v_fma_f64 v[27:28], v[55:56], s[16:17], -v[27:28]
	v_add_f64 v[9:10], v[15:16], v[9:10]
	v_fma_f64 v[15:16], v[45:46], s[46:47], v[131:132]
	v_add_f64 v[11:12], v[19:20], v[11:12]
	v_fma_f64 v[19:20], v[45:46], s[34:35], v[131:132]
	v_mul_f64 v[131:132], v[65:66], s[12:13]
	v_add_f64 v[15:16], v[15:16], v[13:14]
	v_fma_f64 v[13:14], v[43:44], s[6:7], v[133:134]
	v_add_f64 v[17:18], v[19:20], v[17:18]
	v_fma_f64 v[19:20], v[43:44], s[6:7], -v[133:134]
	v_mul_f64 v[133:134], v[63:64], s[28:29]
	v_add_f64 v[13:14], v[13:14], v[9:10]
	v_mul_f64 v[9:10], v[61:62], s[6:7]
	v_fma_f64 v[21:22], v[41:42], s[38:39], v[9:10]
	v_fma_f64 v[135:136], v[41:42], s[52:53], v[9:10]
	v_add_f64 v[9:10], v[19:20], v[11:12]
	v_add_f64 v[11:12], v[21:22], v[17:18]
	v_mul_f64 v[17:18], v[79:80], s[30:31]
	v_fma_f64 v[21:22], v[57:58], s[42:43], v[25:26]
	v_fma_f64 v[25:26], v[57:58], s[30:31], v[25:26]
	v_add_f64 v[15:16], v[135:136], v[15:16]
	v_fma_f64 v[19:20], v[59:60], s[4:5], v[17:18]
	v_add_f64 v[21:22], v[21:22], v[39:40]
	v_fma_f64 v[17:18], v[59:60], s[4:5], -v[17:18]
	v_mul_f64 v[39:40], v[67:68], s[40:41]
	v_add_f64 v[25:26], v[25:26], v[117:118]
	v_mul_f64 v[117:118], v[69:70], s[14:15]
	v_add_f64 v[19:20], v[19:20], v[31:32]
	;; [unrolled: 2-line block ×4, first 2 shown]
	v_fma_f64 v[23:24], v[53:54], s[18:19], v[29:30]
	v_add_f64 v[17:18], v[27:28], v[17:18]
	v_fma_f64 v[27:28], v[53:54], s[50:51], v[29:30]
	v_add_f64 v[21:22], v[23:24], v[21:22]
	;; [unrolled: 2-line block ×3, first 2 shown]
	v_fma_f64 v[27:28], v[51:52], s[6:7], -v[31:32]
	v_add_f64 v[19:20], v[23:24], v[19:20]
	v_fma_f64 v[23:24], v[49:50], s[52:53], v[37:38]
	v_add_f64 v[17:18], v[27:28], v[17:18]
	v_fma_f64 v[27:28], v[49:50], s[38:39], v[37:38]
	v_mul_f64 v[37:38], v[75:76], s[38:39]
	v_add_f64 v[21:22], v[23:24], v[21:22]
	v_fma_f64 v[23:24], v[47:48], s[12:13], v[39:40]
	v_add_f64 v[25:26], v[27:28], v[25:26]
	v_fma_f64 v[27:28], v[47:48], s[12:13], -v[39:40]
	v_fma_f64 v[31:32], v[55:56], s[6:7], v[37:38]
	v_mul_f64 v[39:40], v[73:74], s[6:7]
	v_fma_f64 v[37:38], v[55:56], s[6:7], -v[37:38]
	v_add_f64 v[19:20], v[23:24], v[19:20]
	v_fma_f64 v[23:24], v[45:46], s[36:37], v[131:132]
	v_add_f64 v[17:18], v[27:28], v[17:18]
	v_fma_f64 v[27:28], v[45:46], s[40:41], v[131:132]
	v_mul_f64 v[131:132], v[65:66], s[4:5]
	v_add_f64 v[23:24], v[23:24], v[21:22]
	v_fma_f64 v[21:22], v[43:44], s[8:9], v[133:134]
	v_add_f64 v[25:26], v[27:28], v[25:26]
	v_fma_f64 v[27:28], v[43:44], s[8:9], -v[133:134]
	v_mul_f64 v[133:134], v[63:64], s[36:37]
	v_add_f64 v[21:22], v[21:22], v[19:20]
	v_mul_f64 v[19:20], v[61:62], s[8:9]
	v_add_f64 v[17:18], v[27:28], v[17:18]
	v_fma_f64 v[135:136], v[41:42], s[48:49], v[19:20]
	v_fma_f64 v[19:20], v[41:42], s[28:29], v[19:20]
	v_add_f64 v[23:24], v[135:136], v[23:24]
	v_add_f64 v[19:20], v[19:20], v[25:26]
	v_mul_f64 v[25:26], v[79:80], s[48:49]
	v_fma_f64 v[27:28], v[59:60], s[8:9], v[25:26]
	v_fma_f64 v[25:26], v[59:60], s[8:9], -v[25:26]
	v_add_f64 v[27:28], v[27:28], v[33:34]
	v_mul_f64 v[33:34], v[77:78], s[8:9]
	v_add_f64 v[25:26], v[25:26], v[121:122]
	v_add_f64 v[27:28], v[31:32], v[27:28]
	v_fma_f64 v[29:30], v[57:58], s[28:29], v[33:34]
	v_fma_f64 v[31:32], v[53:54], s[52:53], v[39:40]
	;; [unrolled: 1-line block ×3, first 2 shown]
	v_add_f64 v[25:26], v[37:38], v[25:26]
	v_fma_f64 v[37:38], v[53:54], s[38:39], v[39:40]
	v_mul_f64 v[39:40], v[77:78], s[14:15]
	v_mul_f64 v[77:78], v[77:78], s[6:7]
	v_add_f64 v[29:30], v[29:30], v[119:120]
	v_mul_f64 v[119:120], v[67:68], s[42:43]
	v_add_f64 v[33:34], v[33:34], v[123:124]
	v_add_f64 v[29:30], v[31:32], v[29:30]
	v_fma_f64 v[31:32], v[51:52], s[14:15], v[115:116]
	v_add_f64 v[33:34], v[37:38], v[33:34]
	v_fma_f64 v[37:38], v[51:52], s[14:15], -v[115:116]
	v_mul_f64 v[115:116], v[75:76], s[40:41]
	v_mul_f64 v[75:76], v[75:76], s[28:29]
	v_add_f64 v[27:28], v[31:32], v[27:28]
	v_fma_f64 v[31:32], v[49:50], s[34:35], v[117:118]
	v_add_f64 v[25:26], v[37:38], v[25:26]
	v_fma_f64 v[37:38], v[49:50], s[46:47], v[117:118]
	v_fma_f64 v[117:118], v[55:56], s[12:13], v[115:116]
	v_fma_f64 v[115:116], v[55:56], s[12:13], -v[115:116]
	v_add_f64 v[29:30], v[31:32], v[29:30]
	v_fma_f64 v[31:32], v[47:48], s[4:5], v[119:120]
	v_add_f64 v[33:34], v[37:38], v[33:34]
	v_fma_f64 v[37:38], v[47:48], s[4:5], -v[119:120]
	v_add_f64 v[27:28], v[31:32], v[27:28]
	v_fma_f64 v[31:32], v[45:46], s[30:31], v[131:132]
	v_add_f64 v[25:26], v[37:38], v[25:26]
	v_fma_f64 v[37:38], v[45:46], s[42:43], v[131:132]
	;; [unrolled: 2-line block ×3, first 2 shown]
	v_add_f64 v[33:34], v[37:38], v[33:34]
	v_fma_f64 v[37:38], v[43:44], s[12:13], -v[133:134]
	v_add_f64 v[29:30], v[29:30], v[27:28]
	v_mul_f64 v[27:28], v[61:62], s[12:13]
	v_add_f64 v[25:26], v[37:38], v[25:26]
	v_mul_f64 v[37:38], v[79:80], s[34:35]
	v_mul_f64 v[79:80], v[79:80], s[38:39]
	v_fma_f64 v[135:136], v[41:42], s[40:41], v[27:28]
	v_fma_f64 v[27:28], v[41:42], s[36:37], v[27:28]
	v_add_f64 v[31:32], v[135:136], v[31:32]
	v_add_f64 v[27:28], v[27:28], v[33:34]
	v_fma_f64 v[33:34], v[59:60], s[14:15], v[37:38]
	v_fma_f64 v[37:38], v[59:60], s[14:15], -v[37:38]
	v_add_f64 v[33:34], v[33:34], v[35:36]
	v_fma_f64 v[35:36], v[57:58], s[46:47], v[39:40]
	v_add_f64 v[37:38], v[37:38], v[127:128]
	v_fma_f64 v[39:40], v[57:58], s[34:35], v[39:40]
	v_add_f64 v[33:34], v[117:118], v[33:34]
	v_mul_f64 v[117:118], v[73:74], s[12:13]
	v_add_f64 v[35:36], v[35:36], v[125:126]
	v_add_f64 v[39:40], v[39:40], v[129:130]
	;; [unrolled: 1-line block ×3, first 2 shown]
	v_mul_f64 v[73:74], v[73:74], s[8:9]
	v_fma_f64 v[119:120], v[53:54], s[36:37], v[117:118]
	v_fma_f64 v[115:116], v[53:54], s[40:41], v[117:118]
	v_add_f64 v[35:36], v[119:120], v[35:36]
	v_mul_f64 v[119:120], v[71:72], s[42:43]
	v_add_f64 v[39:40], v[115:116], v[39:40]
	v_mul_f64 v[71:72], v[71:72], s[36:37]
	v_fma_f64 v[121:122], v[51:52], s[4:5], v[119:120]
	v_fma_f64 v[115:116], v[51:52], s[4:5], -v[119:120]
	v_add_f64 v[33:34], v[121:122], v[33:34]
	v_mul_f64 v[121:122], v[69:70], s[4:5]
	v_add_f64 v[37:38], v[115:116], v[37:38]
	v_mul_f64 v[69:70], v[69:70], s[12:13]
	v_fma_f64 v[123:124], v[49:50], s[30:31], v[121:122]
	v_fma_f64 v[115:116], v[49:50], s[42:43], v[121:122]
	v_add_f64 v[35:36], v[123:124], v[35:36]
	v_mul_f64 v[123:124], v[67:68], s[38:39]
	v_add_f64 v[39:40], v[115:116], v[39:40]
	v_mul_f64 v[67:68], v[67:68], s[18:19]
	v_fma_f64 v[125:126], v[47:48], s[6:7], v[123:124]
	v_fma_f64 v[115:116], v[47:48], s[6:7], -v[123:124]
	v_add_f64 v[33:34], v[125:126], v[33:34]
	v_mul_f64 v[125:126], v[65:66], s[6:7]
	v_add_f64 v[37:38], v[115:116], v[37:38]
	v_mul_f64 v[65:66], v[65:66], s[16:17]
	v_fma_f64 v[131:132], v[45:46], s[52:53], v[125:126]
	v_fma_f64 v[115:116], v[45:46], s[38:39], v[125:126]
	v_add_f64 v[35:36], v[131:132], v[35:36]
	v_mul_f64 v[131:132], v[63:64], s[18:19]
	v_add_f64 v[39:40], v[115:116], v[39:40]
	v_fma_f64 v[115:116], v[43:44], s[16:17], -v[131:132]
	v_fma_f64 v[133:134], v[43:44], s[16:17], v[131:132]
	v_add_f64 v[37:38], v[115:116], v[37:38]
	v_fma_f64 v[115:116], v[59:60], s[6:7], v[79:80]
	v_fma_f64 v[79:80], v[59:60], s[6:7], -v[79:80]
	v_fma_f64 v[59:60], v[59:60], s[12:13], -v[101:102]
	v_add_f64 v[33:34], v[133:134], v[33:34]
	v_mul_f64 v[133:134], v[61:62], s[16:17]
	v_add_f64 v[111:112], v[115:116], v[111:112]
	v_fma_f64 v[115:116], v[57:58], s[52:53], v[77:78]
	v_fma_f64 v[77:78], v[57:58], s[38:39], v[77:78]
	v_fma_f64 v[57:58], v[57:58], s[40:41], v[103:104]
	v_add_f64 v[79:80], v[79:80], v[97:98]
	v_add_f64 v[59:60], v[59:60], v[81:82]
	v_fma_f64 v[117:118], v[41:42], s[18:19], v[133:134]
	v_fma_f64 v[135:136], v[41:42], s[50:51], v[133:134]
	v_add_f64 v[109:110], v[115:116], v[109:110]
	v_fma_f64 v[115:116], v[55:56], s[8:9], v[75:76]
	v_add_f64 v[77:78], v[77:78], v[95:96]
	v_fma_f64 v[75:76], v[55:56], s[8:9], -v[75:76]
	v_fma_f64 v[55:56], v[55:56], s[14:15], -v[105:106]
	v_add_f64 v[57:58], v[57:58], v[83:84]
	v_add_f64 v[39:40], v[117:118], v[39:40]
	v_mul_f64 v[117:118], v[61:62], s[14:15]
	v_add_f64 v[35:36], v[135:136], v[35:36]
	v_add_f64 v[111:112], v[115:116], v[111:112]
	v_fma_f64 v[115:116], v[53:54], s[48:49], v[73:74]
	v_fma_f64 v[73:74], v[53:54], s[28:29], v[73:74]
	v_fma_f64 v[53:54], v[53:54], s[46:47], v[107:108]
	v_add_f64 v[75:76], v[75:76], v[79:80]
	v_add_f64 v[55:56], v[55:56], v[59:60]
	v_add_f64 v[109:110], v[115:116], v[109:110]
	v_fma_f64 v[115:116], v[51:52], s[12:13], v[71:72]
	v_add_f64 v[73:74], v[73:74], v[77:78]
	v_fma_f64 v[71:72], v[51:52], s[12:13], -v[71:72]
	v_fma_f64 v[51:52], v[51:52], s[16:17], -v[99:100]
	v_add_f64 v[53:54], v[53:54], v[57:58]
	v_add_f64 v[111:112], v[115:116], v[111:112]
	v_fma_f64 v[115:116], v[49:50], s[40:41], v[69:70]
	v_fma_f64 v[69:70], v[49:50], s[36:37], v[69:70]
	;; [unrolled: 1-line block ×3, first 2 shown]
	v_add_f64 v[71:72], v[71:72], v[75:76]
	v_add_f64 v[51:52], v[51:52], v[55:56]
	;; [unrolled: 1-line block ×3, first 2 shown]
	v_fma_f64 v[115:116], v[47:48], s[16:17], v[67:68]
	v_add_f64 v[69:70], v[69:70], v[73:74]
	v_fma_f64 v[67:68], v[47:48], s[16:17], -v[67:68]
	v_fma_f64 v[47:48], v[47:48], s[8:9], -v[91:92]
	v_add_f64 v[49:50], v[49:50], v[53:54]
	v_fma_f64 v[53:54], v[41:42], s[30:31], v[85:86]
	v_add_f64 v[111:112], v[115:116], v[111:112]
	v_fma_f64 v[115:116], v[45:46], s[50:51], v[65:66]
	v_fma_f64 v[65:66], v[45:46], s[18:19], v[65:66]
	;; [unrolled: 1-line block ×3, first 2 shown]
	v_add_f64 v[67:68], v[67:68], v[71:72]
	v_fma_f64 v[71:72], v[41:42], s[34:35], v[117:118]
	v_add_f64 v[109:110], v[115:116], v[109:110]
	v_mul_f64 v[115:116], v[63:64], s[34:35]
	v_fma_f64 v[63:64], v[41:42], s[46:47], v[117:118]
	v_add_f64 v[69:70], v[65:66], v[69:70]
	v_add_f64 v[41:42], v[47:48], v[51:52]
	;; [unrolled: 1-line block ×3, first 2 shown]
	v_fma_f64 v[61:62], v[43:44], s[14:15], v[115:116]
	v_fma_f64 v[65:66], v[43:44], s[14:15], -v[115:116]
	v_fma_f64 v[43:44], v[43:44], s[4:5], -v[87:88]
	v_add_f64 v[63:64], v[63:64], v[109:110]
	v_add_f64 v[61:62], v[61:62], v[111:112]
	;; [unrolled: 1-line block ×6, first 2 shown]
	v_mad_u32_u24 v41, 0x9c0, v114, 0
	v_lshl_add_u32 v46, v113, 4, v41
	ds_write_b128 v46, v[5:8] offset:192
	ds_write_b128 v46, v[13:16] offset:384
	;; [unrolled: 1-line block ×12, first 2 shown]
	ds_write_b128 v46, v[1:4]
	s_waitcnt lgkmcnt(0)
	s_barrier
	buffer_gl0_inv
	s_and_saveexec_b32 s25, vcc_lo
	s_cbranch_execz .LBB0_14
; %bb.13:
	v_mul_lo_u16 v1, v114, 20
	v_mov_b32_e32 v2, 12
	v_mul_i32_i24_e32 v17, 0xfffff700, v114
	v_lshlrev_b32_e32 v18, 4, v113
	v_lshrrev_b16 v1, 8, v1
	v_add3_u32 v58, v41, v17, v18
	v_mul_lo_u16 v1, v1, 13
	v_sub_nc_u16 v57, v114, v1
	v_mul_u32_u24_sdwa v1, v57, v2 dst_sel:DWORD dst_unused:UNUSED_PAD src0_sel:BYTE_0 src1_sel:DWORD
	v_lshlrev_b32_e32 v53, 4, v1
	s_clause 0x4
	global_load_dwordx4 v[1:4], v53, s[44:45] offset:80
	global_load_dwordx4 v[5:8], v53, s[44:45] offset:96
	;; [unrolled: 1-line block ×5, first 2 shown]
	ds_read_b128 v[19:22], v58 offset:14976
	ds_read_b128 v[25:28], v58 offset:17472
	s_waitcnt vmcnt(4) lgkmcnt(1)
	v_mul_f64 v[17:18], v[21:22], v[3:4]
	v_mul_f64 v[3:4], v[19:20], v[3:4]
	s_waitcnt vmcnt(3) lgkmcnt(0)
	v_mul_f64 v[23:24], v[27:28], v[7:8]
	v_mul_f64 v[7:8], v[25:26], v[7:8]
	v_fma_f64 v[19:20], v[19:20], v[1:2], v[17:18]
	v_fma_f64 v[17:18], v[21:22], v[1:2], -v[3:4]
	ds_read_b128 v[1:4], v58 offset:12480
	ds_read_b128 v[37:40], v58 offset:9984
	v_fma_f64 v[25:26], v[25:26], v[5:6], v[23:24]
	v_fma_f64 v[21:22], v[27:28], v[5:6], -v[7:8]
	ds_read_b128 v[5:8], v58 offset:19968
	s_waitcnt vmcnt(2) lgkmcnt(2)
	v_mul_f64 v[29:30], v[3:4], v[11:12]
	v_mul_f64 v[11:12], v[1:2], v[11:12]
	v_add_f64 v[129:130], v[19:20], -v[25:26]
	v_add_f64 v[131:132], v[17:18], -v[21:22]
	v_fma_f64 v[27:28], v[1:2], v[9:10], v[29:30]
	v_fma_f64 v[23:24], v[3:4], v[9:10], -v[11:12]
	ds_read_b128 v[1:4], v58 offset:22464
	s_waitcnt vmcnt(1) lgkmcnt(1)
	v_mul_f64 v[9:10], v[7:8], v[15:16]
	v_mul_f64 v[11:12], v[5:6], v[15:16]
	;; [unrolled: 1-line block ×4, first 2 shown]
	v_fma_f64 v[31:32], v[5:6], v[13:14], v[9:10]
	v_fma_f64 v[29:30], v[7:8], v[13:14], -v[11:12]
	s_waitcnt vmcnt(0)
	v_mul_f64 v[9:10], v[39:40], v[35:36]
	v_mul_f64 v[11:12], v[37:38], v[35:36]
	global_load_dwordx4 v[5:8], v53, s[44:45] offset:32
	v_add_f64 v[133:134], v[27:28], -v[31:32]
	v_add_f64 v[135:136], v[23:24], -v[29:30]
	v_fma_f64 v[35:36], v[37:38], v[33:34], v[9:10]
	v_fma_f64 v[33:34], v[39:40], v[33:34], -v[11:12]
	s_clause 0x1
	global_load_dwordx4 v[9:12], v53, s[44:45] offset:128
	global_load_dwordx4 v[13:16], v53, s[44:45] offset:144
	s_waitcnt vmcnt(1) lgkmcnt(0)
	v_mul_f64 v[37:38], v[3:4], v[11:12]
	v_fma_f64 v[37:38], v[1:2], v[9:10], v[37:38]
	v_mul_f64 v[1:2], v[1:2], v[11:12]
	v_add_f64 v[137:138], v[35:36], -v[37:38]
	v_fma_f64 v[39:40], v[3:4], v[9:10], -v[1:2]
	ds_read_b128 v[1:4], v58 offset:7488
	ds_read_b128 v[9:12], v58 offset:4992
	s_waitcnt lgkmcnt(1)
	v_mul_f64 v[41:42], v[3:4], v[7:8]
	v_mul_f64 v[83:84], v[137:138], s[38:39]
	v_add_f64 v[139:140], v[33:34], -v[39:40]
	v_fma_f64 v[41:42], v[1:2], v[5:6], v[41:42]
	v_mul_f64 v[1:2], v[1:2], v[7:8]
	v_mul_f64 v[81:82], v[139:140], s[38:39]
	v_fma_f64 v[43:44], v[3:4], v[5:6], -v[1:2]
	ds_read_b128 v[1:4], v58 offset:24960
	ds_read_b128 v[59:62], v58 offset:27456
	s_waitcnt vmcnt(0) lgkmcnt(1)
	v_mul_f64 v[5:6], v[3:4], v[15:16]
	v_fma_f64 v[45:46], v[1:2], v[13:14], v[5:6]
	v_mul_f64 v[1:2], v[1:2], v[15:16]
	v_add_f64 v[141:142], v[41:42], -v[45:46]
	v_fma_f64 v[47:48], v[3:4], v[13:14], -v[1:2]
	s_clause 0x1
	global_load_dwordx4 v[1:4], v53, s[44:45] offset:16
	global_load_dwordx4 v[5:8], v53, s[44:45]
	v_mul_f64 v[87:88], v[141:142], s[50:51]
	v_add_f64 v[143:144], v[43:44], -v[47:48]
	v_mul_f64 v[85:86], v[143:144], s[50:51]
	s_waitcnt vmcnt(1)
	v_mul_f64 v[13:14], v[11:12], v[3:4]
	v_mul_f64 v[3:4], v[9:10], v[3:4]
	v_fma_f64 v[49:50], v[9:10], v[1:2], v[13:14]
	v_fma_f64 v[51:52], v[11:12], v[1:2], -v[3:4]
	s_clause 0x1
	global_load_dwordx4 v[1:4], v53, s[44:45] offset:160
	global_load_dwordx4 v[9:12], v53, s[44:45] offset:176
	s_waitcnt vmcnt(1) lgkmcnt(0)
	v_mul_f64 v[13:14], v[61:62], v[3:4]
	v_mul_f64 v[3:4], v[59:60], v[3:4]
	v_fma_f64 v[53:54], v[59:60], v[1:2], v[13:14]
	v_fma_f64 v[55:56], v[61:62], v[1:2], -v[3:4]
	ds_read_b128 v[13:16], v58 offset:2496
	ds_read_b128 v[1:4], v58
	s_waitcnt lgkmcnt(1)
	v_mul_f64 v[59:60], v[15:16], v[7:8]
	v_mul_f64 v[7:8], v[13:14], v[7:8]
	v_add_f64 v[145:146], v[49:50], -v[53:54]
	v_add_f64 v[147:148], v[51:52], -v[55:56]
	v_fma_f64 v[59:60], v[13:14], v[5:6], v[59:60]
	v_fma_f64 v[61:62], v[15:16], v[5:6], -v[7:8]
	ds_read_b128 v[5:8], v58 offset:29952
	v_add_f64 v[15:16], v[35:36], v[37:38]
	v_mul_f64 v[73:74], v[145:146], s[18:19]
	v_mul_f64 v[67:68], v[147:148], s[18:19]
	;; [unrolled: 1-line block ×5, first 2 shown]
	s_waitcnt vmcnt(0) lgkmcnt(0)
	v_mul_f64 v[13:14], v[7:8], v[11:12]
	v_fma_f64 v[63:64], v[5:6], v[9:10], v[13:14]
	v_mul_f64 v[5:6], v[5:6], v[11:12]
	v_add_f64 v[149:150], v[59:60], -v[63:64]
	v_fma_f64 v[65:66], v[7:8], v[9:10], -v[5:6]
	v_mad_u64_u32 v[9:10], null, s2, v113, 0
	v_add_f64 v[7:8], v[1:2], v[59:60]
	s_add_u32 s2, s20, s26
	v_mov_b32_e32 v5, v10
	v_mad_u64_u32 v[5:6], null, s3, v113, v[5:6]
	s_addc_u32 s3, s21, s27
	s_load_dwordx2 s[2:3], s[2:3], 0x0
	v_mul_f64 v[69:70], v[149:150], s[52:53]
	v_mov_b32_e32 v10, v5
	v_mov_b32_e32 v5, 0x1a5
	v_add_f64 v[151:152], v[61:62], -v[65:66]
	v_add_f64 v[7:8], v[7:8], v[49:50]
	v_mul_f64 v[91:92], v[149:150], s[40:41]
	v_lshlrev_b64 v[9:10], 4, v[9:10]
	v_mul_u32_u24_sdwa v0, v0, v5 dst_sel:DWORD dst_unused:UNUSED_PAD src0_sel:WORD_0 src1_sel:DWORD
	v_mul_f64 v[97:98], v[149:150], s[46:47]
	v_mul_f64 v[153:154], v[149:150], s[18:19]
	v_lshrrev_b32_e32 v0, 16, v0
	v_mul_lo_u16 v0, 0xa9, v0
	s_waitcnt lgkmcnt(0)
	s_mul_i32 s3, s3, s24
	s_mul_hi_u32 s20, s2, s24
	s_mul_i32 s2, s2, s24
	s_add_i32 s3, s20, s3
	v_add_nc_u32_sdwa v124, v57, v0 dst_sel:DWORD dst_unused:UNUSED_PAD src0_sel:BYTE_0 src1_sel:WORD_0
	s_lshl_b64 s[2:3], s[2:3], 4
	v_add_f64 v[57:58], v[59:60], v[63:64]
	s_add_u32 s10, s10, s2
	v_add_f64 v[7:8], v[7:8], v[41:42]
	v_mad_u64_u32 v[11:12], null, s0, v124, 0
	s_addc_u32 s11, s11, s3
	s_lshl_b64 s[2:3], s[22:23], 4
	v_mul_f64 v[71:72], v[151:152], s[52:53]
	s_add_u32 s2, s10, s2
	s_addc_u32 s3, s11, s3
	v_mul_f64 v[93:94], v[151:152], s[40:41]
	v_mov_b32_e32 v0, v12
	v_mul_f64 v[59:60], v[137:138], s[48:49]
	v_add_nc_u32_e32 v79, 26, v124
	v_mul_f64 v[99:100], v[151:152], s[46:47]
	v_add_nc_u32_e32 v107, 39, v124
	v_mad_u64_u32 v[5:6], null, s1, v124, v[0:1]
	v_add_co_u32 v0, vcc_lo, s2, v9
	v_add_co_ci_u32_e32 v123, vcc_lo, s3, v10, vcc_lo
	v_mul_f64 v[121:122], v[151:152], s[18:19]
	v_add_nc_u32_e32 v157, 52, v124
	v_mov_b32_e32 v12, v5
	v_add_f64 v[5:6], v[3:4], v[61:62]
	v_add_f64 v[7:8], v[7:8], v[35:36]
	v_mul_f64 v[159:160], v[151:152], s[28:29]
	v_add_nc_u32_e32 v181, 0x41, v124
	v_lshlrev_b64 v[9:10], 4, v[11:12]
	v_add_f64 v[11:12], v[27:28], v[31:32]
	v_mul_f64 v[151:152], v[151:152], s[30:31]
	v_add_co_u32 v9, vcc_lo, v0, v9
	v_add_co_ci_u32_e32 v10, vcc_lo, v123, v10, vcc_lo
	v_add_f64 v[5:6], v[5:6], v[51:52]
	v_add_f64 v[7:8], v[7:8], v[27:28]
	;; [unrolled: 1-line block ×5, first 2 shown]
	v_fma_f64 v[163:164], v[27:28], s[14:15], v[161:162]
	v_add_f64 v[5:6], v[5:6], v[33:34]
	v_add_f64 v[7:8], v[7:8], v[25:26]
	;; [unrolled: 1-line block ×4, first 2 shown]
	v_mul_f64 v[31:32], v[139:140], s[18:19]
	v_add_f64 v[5:6], v[5:6], v[17:18]
	v_add_f64 v[7:8], v[7:8], v[37:38]
	v_mul_f64 v[37:38], v[137:138], s[18:19]
	v_add_f64 v[5:6], v[5:6], v[21:22]
	v_add_f64 v[7:8], v[7:8], v[45:46]
	;; [unrolled: 1-line block ×4, first 2 shown]
	v_mul_f64 v[53:54], v[139:140], s[48:49]
	v_add_f64 v[5:6], v[5:6], v[39:40]
	v_add_f64 v[5:6], v[5:6], v[47:48]
	;; [unrolled: 1-line block ×8, first 2 shown]
	v_mul_f64 v[43:44], v[141:142], s[46:47]
	v_mul_f64 v[29:30], v[133:134], s[28:29]
	;; [unrolled: 1-line block ×4, first 2 shown]
	global_store_dwordx4 v[9:10], v[5:8], off
	v_add_f64 v[5:6], v[19:20], v[25:26]
	v_add_f64 v[9:10], v[17:18], v[21:22]
	;; [unrolled: 1-line block ×5, first 2 shown]
	v_fma_f64 v[7:8], v[63:64], s[6:7], -v[69:70]
	v_mul_f64 v[41:42], v[145:146], s[40:41]
	v_mul_f64 v[45:46], v[147:148], s[40:41]
	;; [unrolled: 1-line block ×3, first 2 shown]
	v_add_nc_u32_e32 v51, 13, v124
	v_add_f64 v[7:8], v[3:4], v[7:8]
	v_fma_f64 v[21:22], v[33:34], s[12:13], -v[41:42]
	v_fma_f64 v[25:26], v[27:28], s[12:13], v[45:46]
	v_add_f64 v[7:8], v[21:22], v[7:8]
	v_fma_f64 v[21:22], v[57:58], s[6:7], v[71:72]
	v_add_f64 v[21:22], v[1:2], v[21:22]
	v_add_f64 v[21:22], v[25:26], v[21:22]
	v_fma_f64 v[25:26], v[23:24], s[14:15], -v[43:44]
	v_add_f64 v[7:8], v[25:26], v[7:8]
	v_fma_f64 v[25:26], v[19:20], s[14:15], v[39:40]
	v_add_f64 v[21:22], v[25:26], v[21:22]
	v_fma_f64 v[25:26], v[17:18], s[16:17], -v[37:38]
	v_add_f64 v[7:8], v[25:26], v[7:8]
	v_fma_f64 v[25:26], v[15:16], s[16:17], v[31:32]
	v_add_f64 v[21:22], v[25:26], v[21:22]
	v_fma_f64 v[25:26], v[13:14], s[8:9], -v[29:30]
	v_add_f64 v[7:8], v[25:26], v[7:8]
	v_mul_f64 v[25:26], v[135:136], s[28:29]
	v_fma_f64 v[35:36], v[11:12], s[8:9], v[25:26]
	v_add_f64 v[35:36], v[35:36], v[21:22]
	v_mul_f64 v[21:22], v[129:130], s[30:31]
	v_fma_f64 v[47:48], v[9:10], s[4:5], -v[21:22]
	v_fma_f64 v[21:22], v[9:10], s[4:5], v[21:22]
	v_add_f64 v[49:50], v[47:48], v[7:8]
	v_mul_f64 v[7:8], v[131:132], s[30:31]
	v_fma_f64 v[47:48], v[5:6], s[4:5], v[7:8]
	v_add_f64 v[47:48], v[47:48], v[35:36]
	v_mad_u64_u32 v[35:36], null, s0, v51, 0
	v_mad_u64_u32 v[51:52], null, s1, v51, v[36:37]
	v_mov_b32_e32 v36, v51
	v_mul_f64 v[51:52], v[133:134], s[34:35]
	v_lshlrev_b64 v[35:36], 4, v[35:36]
	v_add_co_u32 v35, vcc_lo, v0, v35
	v_add_co_ci_u32_e32 v36, vcc_lo, v123, v36, vcc_lo
	global_store_dwordx4 v[35:36], v[47:50], off
	v_fma_f64 v[35:36], v[63:64], s[12:13], -v[91:92]
	v_fma_f64 v[47:48], v[33:34], s[16:17], -v[73:74]
	v_fma_f64 v[49:50], v[27:28], s[16:17], v[67:68]
	v_fma_f64 v[91:92], v[63:64], s[12:13], v[91:92]
	;; [unrolled: 1-line block ×3, first 2 shown]
	v_fma_f64 v[67:68], v[27:28], s[16:17], -v[67:68]
	v_add_f64 v[35:36], v[3:4], v[35:36]
	v_add_f64 v[91:92], v[3:4], v[91:92]
	;; [unrolled: 1-line block ×3, first 2 shown]
	v_fma_f64 v[47:48], v[57:58], s[12:13], v[93:94]
	v_fma_f64 v[93:94], v[57:58], s[12:13], -v[93:94]
	v_add_f64 v[47:48], v[1:2], v[47:48]
	v_add_f64 v[93:94], v[1:2], v[93:94]
	;; [unrolled: 1-line block ×3, first 2 shown]
	v_fma_f64 v[49:50], v[23:24], s[4:5], -v[65:66]
	v_fma_f64 v[65:66], v[23:24], s[4:5], v[65:66]
	v_add_f64 v[67:68], v[67:68], v[93:94]
	v_add_f64 v[35:36], v[49:50], v[35:36]
	v_fma_f64 v[49:50], v[19:20], s[4:5], v[61:62]
	v_fma_f64 v[61:62], v[19:20], s[4:5], -v[61:62]
	v_add_f64 v[47:48], v[49:50], v[47:48]
	v_fma_f64 v[49:50], v[17:18], s[8:9], -v[59:60]
	v_fma_f64 v[59:60], v[17:18], s[8:9], v[59:60]
	v_add_f64 v[35:36], v[49:50], v[35:36]
	v_fma_f64 v[49:50], v[15:16], s[8:9], v[53:54]
	v_fma_f64 v[53:54], v[15:16], s[8:9], -v[53:54]
	v_add_f64 v[47:48], v[49:50], v[47:48]
	v_fma_f64 v[49:50], v[13:14], s[14:15], -v[51:52]
	v_fma_f64 v[51:52], v[13:14], s[14:15], v[51:52]
	v_add_f64 v[35:36], v[49:50], v[35:36]
	v_mul_f64 v[49:50], v[135:136], s[34:35]
	v_fma_f64 v[55:56], v[11:12], s[14:15], v[49:50]
	v_add_f64 v[55:56], v[55:56], v[47:48]
	v_mul_f64 v[47:48], v[129:130], s[38:39]
	v_fma_f64 v[75:76], v[9:10], s[6:7], -v[47:48]
	v_add_f64 v[77:78], v[75:76], v[35:36]
	v_mul_f64 v[35:36], v[131:132], s[38:39]
	v_fma_f64 v[75:76], v[5:6], s[6:7], v[35:36]
	v_fma_f64 v[35:36], v[5:6], s[6:7], -v[35:36]
	v_add_f64 v[75:76], v[75:76], v[55:56]
	v_mad_u64_u32 v[55:56], null, s0, v79, 0
	v_mad_u64_u32 v[79:80], null, s1, v79, v[56:57]
	v_mov_b32_e32 v56, v79
	v_mul_f64 v[79:80], v[133:134], s[40:41]
	v_lshlrev_b64 v[55:56], 4, v[55:56]
	v_add_co_u32 v55, vcc_lo, v0, v55
	v_add_co_ci_u32_e32 v56, vcc_lo, v123, v56, vcc_lo
	global_store_dwordx4 v[55:56], v[75:78], off
	v_fma_f64 v[55:56], v[63:64], s[14:15], -v[97:98]
	v_fma_f64 v[75:76], v[33:34], s[4:5], -v[95:96]
	v_fma_f64 v[77:78], v[27:28], s[4:5], v[89:90]
	v_fma_f64 v[97:98], v[63:64], s[14:15], v[97:98]
	v_add_f64 v[55:56], v[3:4], v[55:56]
	v_add_f64 v[97:98], v[3:4], v[97:98]
	;; [unrolled: 1-line block ×3, first 2 shown]
	v_fma_f64 v[75:76], v[57:58], s[14:15], v[99:100]
	v_fma_f64 v[99:100], v[57:58], s[14:15], -v[99:100]
	v_add_f64 v[75:76], v[1:2], v[75:76]
	v_add_f64 v[99:100], v[1:2], v[99:100]
	;; [unrolled: 1-line block ×3, first 2 shown]
	v_fma_f64 v[77:78], v[23:24], s[16:17], -v[87:88]
	v_add_f64 v[55:56], v[77:78], v[55:56]
	v_fma_f64 v[77:78], v[19:20], s[16:17], v[85:86]
	v_add_f64 v[75:76], v[77:78], v[75:76]
	v_fma_f64 v[77:78], v[17:18], s[6:7], -v[83:84]
	v_add_f64 v[55:56], v[77:78], v[55:56]
	v_fma_f64 v[77:78], v[15:16], s[6:7], v[81:82]
	v_add_f64 v[75:76], v[77:78], v[75:76]
	v_fma_f64 v[77:78], v[13:14], s[12:13], -v[79:80]
	v_add_f64 v[55:56], v[77:78], v[55:56]
	v_mul_f64 v[77:78], v[135:136], s[40:41]
	v_fma_f64 v[101:102], v[11:12], s[12:13], v[77:78]
	v_add_f64 v[101:102], v[101:102], v[75:76]
	v_mul_f64 v[75:76], v[129:130], s[28:29]
	v_fma_f64 v[103:104], v[9:10], s[8:9], -v[75:76]
	v_add_f64 v[103:104], v[103:104], v[55:56]
	v_mul_f64 v[55:56], v[131:132], s[28:29]
	v_fma_f64 v[105:106], v[5:6], s[8:9], v[55:56]
	v_add_f64 v[101:102], v[105:106], v[101:102]
	v_mad_u64_u32 v[105:106], null, s0, v107, 0
	v_mad_u64_u32 v[106:107], null, s1, v107, v[106:107]
	v_lshlrev_b64 v[105:106], 4, v[105:106]
	v_add_co_u32 v105, vcc_lo, v0, v105
	v_add_co_ci_u32_e32 v106, vcc_lo, v123, v106, vcc_lo
	global_store_dwordx4 v[105:106], v[101:104], off
	v_fma_f64 v[101:102], v[63:64], s[16:17], -v[153:154]
	v_add_f64 v[103:104], v[3:4], v[101:102]
	v_mul_f64 v[101:102], v[145:146], s[48:49]
	v_fma_f64 v[105:106], v[33:34], s[8:9], -v[101:102]
	v_add_f64 v[107:108], v[105:106], v[103:104]
	v_fma_f64 v[103:104], v[57:58], s[16:17], v[121:122]
	v_add_f64 v[105:106], v[1:2], v[103:104]
	v_mul_f64 v[103:104], v[147:148], s[48:49]
	v_mul_f64 v[147:148], v[147:148], s[38:39]
	v_fma_f64 v[109:110], v[27:28], s[8:9], v[103:104]
	v_add_f64 v[109:110], v[109:110], v[105:106]
	v_mul_f64 v[105:106], v[141:142], s[38:39]
	v_fma_f64 v[111:112], v[23:24], s[6:7], -v[105:106]
	v_add_f64 v[111:112], v[111:112], v[107:108]
	v_mul_f64 v[107:108], v[143:144], s[38:39]
	v_fma_f64 v[113:114], v[19:20], s[6:7], v[107:108]
	v_add_f64 v[113:114], v[113:114], v[109:110]
	v_mul_f64 v[109:110], v[137:138], s[46:47]
	v_fma_f64 v[115:116], v[17:18], s[14:15], -v[109:110]
	v_add_f64 v[115:116], v[115:116], v[111:112]
	;; [unrolled: 6-line block ×3, first 2 shown]
	v_mul_f64 v[115:116], v[135:136], s[42:43]
	v_fma_f64 v[125:126], v[11:12], s[4:5], v[115:116]
	v_add_f64 v[125:126], v[125:126], v[117:118]
	v_mul_f64 v[117:118], v[129:130], s[36:37]
	v_mul_f64 v[129:130], v[129:130], s[34:35]
	v_fma_f64 v[127:128], v[9:10], s[12:13], -v[117:118]
	v_add_f64 v[127:128], v[127:128], v[119:120]
	v_mul_f64 v[119:120], v[131:132], s[36:37]
	v_mul_f64 v[131:132], v[131:132], s[34:35]
	v_fma_f64 v[155:156], v[5:6], s[12:13], v[119:120]
	v_add_f64 v[125:126], v[155:156], v[125:126]
	v_mad_u64_u32 v[155:156], null, s0, v157, 0
	v_mad_u64_u32 v[156:157], null, s1, v157, v[156:157]
	v_mul_f64 v[157:158], v[145:146], s[34:35]
	v_mul_f64 v[145:146], v[145:146], s[38:39]
	v_lshlrev_b64 v[155:156], 4, v[155:156]
	v_add_co_u32 v155, vcc_lo, v0, v155
	v_add_co_ci_u32_e32 v156, vcc_lo, v123, v156, vcc_lo
	global_store_dwordx4 v[155:156], v[125:128], off
	v_mul_f64 v[155:156], v[149:150], s[28:29]
	v_mul_f64 v[149:150], v[149:150], s[30:31]
	v_fma_f64 v[127:128], v[33:34], s[14:15], -v[157:158]
	v_fma_f64 v[125:126], v[63:64], s[8:9], -v[155:156]
	v_add_f64 v[125:126], v[3:4], v[125:126]
	v_add_f64 v[125:126], v[127:128], v[125:126]
	v_fma_f64 v[127:128], v[57:58], s[8:9], v[159:160]
	v_add_f64 v[127:128], v[1:2], v[127:128]
	v_add_f64 v[127:128], v[163:164], v[127:128]
	v_mul_f64 v[163:164], v[141:142], s[40:41]
	v_mul_f64 v[141:142], v[141:142], s[28:29]
	v_fma_f64 v[165:166], v[23:24], s[12:13], -v[163:164]
	v_add_f64 v[125:126], v[165:166], v[125:126]
	v_mul_f64 v[165:166], v[143:144], s[40:41]
	v_mul_f64 v[143:144], v[143:144], s[28:29]
	v_fma_f64 v[167:168], v[19:20], s[12:13], v[165:166]
	v_add_f64 v[127:128], v[167:168], v[127:128]
	v_mul_f64 v[167:168], v[137:138], s[42:43]
	v_mul_f64 v[137:138], v[137:138], s[36:37]
	v_fma_f64 v[169:170], v[17:18], s[4:5], -v[167:168]
	v_add_f64 v[125:126], v[169:170], v[125:126]
	v_mul_f64 v[169:170], v[139:140], s[42:43]
	v_mul_f64 v[139:140], v[139:140], s[36:37]
	v_fma_f64 v[171:172], v[15:16], s[4:5], v[169:170]
	;; [unrolled: 8-line block ×3, first 2 shown]
	v_add_f64 v[175:176], v[175:176], v[127:128]
	v_fma_f64 v[127:128], v[9:10], s[16:17], -v[177:178]
	v_add_f64 v[127:128], v[127:128], v[125:126]
	v_fma_f64 v[125:126], v[5:6], s[16:17], v[179:180]
	v_add_f64 v[125:126], v[125:126], v[175:176]
	v_mad_u64_u32 v[175:176], null, s0, v181, 0
	v_mad_u64_u32 v[181:182], null, s1, v181, v[176:177]
	v_mov_b32_e32 v176, v181
	v_add_nc_u32_e32 v181, 0x4e, v124
	v_lshlrev_b64 v[175:176], 4, v[175:176]
	v_add_co_u32 v175, vcc_lo, v0, v175
	v_add_co_ci_u32_e32 v176, vcc_lo, v123, v176, vcc_lo
	global_store_dwordx4 v[175:176], v[125:128], off
	v_fma_f64 v[125:126], v[63:64], s[4:5], -v[149:150]
	v_fma_f64 v[127:128], v[33:34], s[6:7], -v[145:146]
	v_fma_f64 v[175:176], v[27:28], s[6:7], v[147:148]
	v_add_f64 v[125:126], v[3:4], v[125:126]
	v_add_f64 v[125:126], v[127:128], v[125:126]
	v_fma_f64 v[127:128], v[57:58], s[4:5], v[151:152]
	v_add_f64 v[127:128], v[1:2], v[127:128]
	v_add_f64 v[127:128], v[175:176], v[127:128]
	v_fma_f64 v[175:176], v[23:24], s[8:9], -v[141:142]
	v_fma_f64 v[141:142], v[23:24], s[8:9], v[141:142]
	v_add_f64 v[125:126], v[175:176], v[125:126]
	v_fma_f64 v[175:176], v[19:20], s[8:9], v[143:144]
	v_add_f64 v[127:128], v[175:176], v[127:128]
	v_fma_f64 v[175:176], v[17:18], s[12:13], -v[137:138]
	v_fma_f64 v[137:138], v[17:18], s[12:13], v[137:138]
	v_add_f64 v[125:126], v[175:176], v[125:126]
	v_fma_f64 v[175:176], v[15:16], s[12:13], v[139:140]
	;; [unrolled: 5-line block ×3, first 2 shown]
	v_add_f64 v[175:176], v[175:176], v[127:128]
	v_fma_f64 v[127:128], v[9:10], s[14:15], -v[129:130]
	v_add_f64 v[127:128], v[127:128], v[125:126]
	v_fma_f64 v[125:126], v[5:6], s[14:15], v[131:132]
	v_add_f64 v[125:126], v[125:126], v[175:176]
	v_mad_u64_u32 v[175:176], null, s0, v181, 0
	v_mad_u64_u32 v[181:182], null, s1, v181, v[176:177]
	v_mov_b32_e32 v176, v181
	v_lshlrev_b64 v[175:176], 4, v[175:176]
	v_add_co_u32 v175, vcc_lo, v0, v175
	v_add_co_ci_u32_e32 v176, vcc_lo, v123, v176, vcc_lo
	global_store_dwordx4 v[175:176], v[125:128], off
	v_fma_f64 v[125:126], v[63:64], s[4:5], v[149:150]
	v_fma_f64 v[127:128], v[33:34], s[6:7], v[145:146]
	v_fma_f64 v[145:146], v[27:28], s[6:7], -v[147:148]
	v_add_f64 v[125:126], v[3:4], v[125:126]
	v_add_f64 v[125:126], v[127:128], v[125:126]
	v_fma_f64 v[127:128], v[57:58], s[4:5], -v[151:152]
	v_add_f64 v[125:126], v[141:142], v[125:126]
	v_add_f64 v[127:128], v[1:2], v[127:128]
	;; [unrolled: 3-line block ×5, first 2 shown]
	v_fma_f64 v[127:128], v[9:10], s[14:15], v[129:130]
	v_fma_f64 v[129:130], v[5:6], s[14:15], -v[131:132]
	v_add_nc_u32_e32 v131, 0x5b, v124
	v_add_f64 v[127:128], v[127:128], v[125:126]
	v_add_f64 v[125:126], v[129:130], v[133:134]
	v_mad_u64_u32 v[129:130], null, s0, v131, 0
	v_mad_u64_u32 v[130:131], null, s1, v131, v[130:131]
	v_fma_f64 v[131:132], v[5:6], s[16:17], -v[179:180]
	v_lshlrev_b64 v[129:130], 4, v[129:130]
	v_add_co_u32 v129, vcc_lo, v0, v129
	v_add_co_ci_u32_e32 v130, vcc_lo, v123, v130, vcc_lo
	global_store_dwordx4 v[129:130], v[125:128], off
	v_fma_f64 v[125:126], v[63:64], s[8:9], v[155:156]
	v_fma_f64 v[127:128], v[33:34], s[14:15], v[157:158]
	v_fma_f64 v[129:130], v[27:28], s[14:15], -v[161:162]
	v_add_f64 v[125:126], v[3:4], v[125:126]
	v_add_f64 v[125:126], v[127:128], v[125:126]
	v_fma_f64 v[127:128], v[57:58], s[8:9], -v[159:160]
	v_add_f64 v[127:128], v[1:2], v[127:128]
	v_add_f64 v[127:128], v[129:130], v[127:128]
	v_fma_f64 v[129:130], v[23:24], s[12:13], v[163:164]
	v_add_f64 v[125:126], v[129:130], v[125:126]
	v_fma_f64 v[129:130], v[19:20], s[12:13], -v[165:166]
	v_add_f64 v[127:128], v[129:130], v[127:128]
	v_fma_f64 v[129:130], v[17:18], s[4:5], v[167:168]
	v_add_f64 v[125:126], v[129:130], v[125:126]
	v_fma_f64 v[129:130], v[15:16], s[4:5], -v[169:170]
	;; [unrolled: 4-line block ×3, first 2 shown]
	v_add_f64 v[129:130], v[129:130], v[127:128]
	v_fma_f64 v[127:128], v[9:10], s[16:17], v[177:178]
	v_add_f64 v[127:128], v[127:128], v[125:126]
	v_add_f64 v[125:126], v[131:132], v[129:130]
	v_add_nc_u32_e32 v131, 0x68, v124
	v_mad_u64_u32 v[129:130], null, s0, v131, 0
	v_mad_u64_u32 v[130:131], null, s1, v131, v[130:131]
	v_lshlrev_b64 v[129:130], 4, v[129:130]
	v_add_co_u32 v129, vcc_lo, v0, v129
	v_add_co_ci_u32_e32 v130, vcc_lo, v123, v130, vcc_lo
	global_store_dwordx4 v[129:130], v[125:128], off
	v_fma_f64 v[125:126], v[63:64], s[16:17], v[153:154]
	v_fma_f64 v[63:64], v[63:64], s[6:7], v[69:70]
	v_fma_f64 v[69:70], v[57:58], s[16:17], -v[121:122]
	v_fma_f64 v[57:58], v[57:58], s[6:7], -v[71:72]
	v_add_f64 v[71:72], v[3:4], v[125:126]
	v_add_f64 v[63:64], v[3:4], v[63:64]
	;; [unrolled: 1-line block ×4, first 2 shown]
	v_fma_f64 v[1:2], v[33:34], s[8:9], v[101:102]
	v_fma_f64 v[3:4], v[27:28], s[8:9], -v[103:104]
	v_add_f64 v[1:2], v[1:2], v[71:72]
	v_add_f64 v[3:4], v[3:4], v[69:70]
	v_fma_f64 v[69:70], v[23:24], s[6:7], v[105:106]
	v_fma_f64 v[71:72], v[5:6], s[12:13], -v[119:120]
	v_add_f64 v[1:2], v[69:70], v[1:2]
	v_fma_f64 v[69:70], v[19:20], s[6:7], -v[107:108]
	v_add_f64 v[3:4], v[69:70], v[3:4]
	v_fma_f64 v[69:70], v[17:18], s[14:15], v[109:110]
	v_add_f64 v[1:2], v[69:70], v[1:2]
	v_fma_f64 v[69:70], v[15:16], s[14:15], -v[111:112]
	v_add_f64 v[3:4], v[69:70], v[3:4]
	v_fma_f64 v[69:70], v[13:14], s[4:5], v[113:114]
	;; [unrolled: 4-line block ×3, first 2 shown]
	v_add_f64 v[3:4], v[3:4], v[1:2]
	v_add_f64 v[1:2], v[71:72], v[69:70]
	v_add_nc_u32_e32 v71, 0x75, v124
	v_mad_u64_u32 v[69:70], null, s0, v71, 0
	v_mad_u64_u32 v[70:71], null, s1, v71, v[70:71]
	v_fma_f64 v[71:72], v[33:34], s[4:5], v[95:96]
	v_fma_f64 v[33:34], v[33:34], s[12:13], v[41:42]
	v_fma_f64 v[41:42], v[27:28], s[4:5], -v[89:90]
	v_fma_f64 v[27:28], v[27:28], s[12:13], -v[45:46]
	v_fma_f64 v[45:46], v[23:24], s[16:17], v[87:88]
	v_fma_f64 v[23:24], v[23:24], s[14:15], v[43:44]
	v_add_f64 v[43:44], v[71:72], v[97:98]
	v_add_f64 v[33:34], v[33:34], v[63:64]
	v_add_f64 v[41:42], v[41:42], v[99:100]
	v_add_f64 v[71:72], v[73:74], v[91:92]
	v_fma_f64 v[63:64], v[19:20], s[16:17], -v[85:86]
	v_fma_f64 v[19:20], v[19:20], s[14:15], -v[39:40]
	v_add_f64 v[27:28], v[27:28], v[57:58]
	v_fma_f64 v[39:40], v[17:18], s[6:7], v[83:84]
	v_fma_f64 v[17:18], v[17:18], s[16:17], v[37:38]
	v_add_f64 v[37:38], v[45:46], v[43:44]
	v_add_f64 v[23:24], v[23:24], v[33:34]
	;; [unrolled: 1-line block ×5, first 2 shown]
	v_fma_f64 v[33:34], v[15:16], s[6:7], -v[81:82]
	v_fma_f64 v[15:16], v[15:16], s[16:17], -v[31:32]
	v_add_f64 v[19:20], v[19:20], v[27:28]
	v_fma_f64 v[31:32], v[13:14], s[12:13], v[79:80]
	v_fma_f64 v[13:14], v[13:14], s[8:9], v[29:30]
	v_add_f64 v[27:28], v[39:40], v[37:38]
	v_add_f64 v[17:18], v[17:18], v[23:24]
	;; [unrolled: 1-line block ×3, first 2 shown]
	v_fma_f64 v[23:24], v[11:12], s[12:13], -v[77:78]
	v_fma_f64 v[39:40], v[11:12], s[14:15], -v[49:50]
	v_add_f64 v[29:30], v[33:34], v[41:42]
	v_add_f64 v[33:34], v[59:60], v[43:44]
	v_fma_f64 v[11:12], v[11:12], s[8:9], -v[25:26]
	v_add_f64 v[15:16], v[15:16], v[19:20]
	v_add_nc_u32_e32 v41, 0x82, v124
	v_add_nc_u32_e32 v42, 0x8f, v124
	v_fma_f64 v[19:20], v[9:10], s[8:9], v[75:76]
	v_fma_f64 v[25:26], v[9:10], s[6:7], v[47:48]
	v_add_nc_u32_e32 v46, 0x9c, v124
	v_mad_u64_u32 v[44:45], null, s0, v46, 0
	v_add_f64 v[9:10], v[31:32], v[27:28]
	v_mad_u64_u32 v[31:32], null, s0, v41, 0
	v_add_f64 v[13:14], v[13:14], v[17:18]
	;; [unrolled: 2-line block ×3, first 2 shown]
	v_add_f64 v[27:28], v[51:52], v[33:34]
	v_add_f64 v[29:30], v[39:40], v[37:38]
	v_fma_f64 v[33:34], v[5:6], s[8:9], -v[55:56]
	v_fma_f64 v[37:38], v[5:6], s[4:5], -v[7:8]
	v_mov_b32_e32 v5, v32
	v_mov_b32_e32 v6, v18
	v_add_f64 v[39:40], v[11:12], v[15:16]
	v_lshlrev_b64 v[7:8], 4, v[69:70]
	v_mad_u64_u32 v[15:16], null, s1, v41, v[5:6]
	v_mad_u64_u32 v[41:42], null, s1, v42, v[6:7]
	v_add_co_u32 v42, vcc_lo, v0, v7
	v_add_co_ci_u32_e32 v43, vcc_lo, v123, v8, vcc_lo
	v_mov_b32_e32 v32, v15
	v_add_f64 v[7:8], v[19:20], v[9:10]
	v_add_f64 v[15:16], v[21:22], v[13:14]
	v_mov_b32_e32 v19, v45
	v_add_f64 v[11:12], v[25:26], v[27:28]
	v_lshlrev_b64 v[20:21], 4, v[31:32]
	v_add_f64 v[5:6], v[33:34], v[23:24]
	v_add_f64 v[9:10], v[35:36], v[29:30]
	v_mov_b32_e32 v18, v41
	v_add_f64 v[13:14], v[37:38], v[39:40]
	v_mad_u64_u32 v[22:23], null, s1, v46, v[19:20]
	v_lshlrev_b64 v[17:18], 4, v[17:18]
	v_add_co_u32 v19, vcc_lo, v0, v20
	v_add_co_ci_u32_e32 v20, vcc_lo, v123, v21, vcc_lo
	v_mov_b32_e32 v45, v22
	v_add_co_u32 v17, vcc_lo, v0, v17
	v_add_co_ci_u32_e32 v18, vcc_lo, v123, v18, vcc_lo
	v_lshlrev_b64 v[21:22], 4, v[44:45]
	v_add_co_u32 v21, vcc_lo, v0, v21
	v_add_co_ci_u32_e32 v22, vcc_lo, v123, v22, vcc_lo
	global_store_dwordx4 v[42:43], v[1:4], off
	global_store_dwordx4 v[19:20], v[5:8], off
	;; [unrolled: 1-line block ×4, first 2 shown]
.LBB0_14:
	s_endpgm
	.section	.rodata,"a",@progbits
	.p2align	6, 0x0
	.amdhsa_kernel fft_rtc_back_len169_factors_13_13_wgs_156_tpt_13_dp_op_CI_CI_sbcc_dirReg_intrinsicRead
		.amdhsa_group_segment_fixed_size 0
		.amdhsa_private_segment_fixed_size 0
		.amdhsa_kernarg_size 112
		.amdhsa_user_sgpr_count 6
		.amdhsa_user_sgpr_private_segment_buffer 1
		.amdhsa_user_sgpr_dispatch_ptr 0
		.amdhsa_user_sgpr_queue_ptr 0
		.amdhsa_user_sgpr_kernarg_segment_ptr 1
		.amdhsa_user_sgpr_dispatch_id 0
		.amdhsa_user_sgpr_flat_scratch_init 0
		.amdhsa_user_sgpr_private_segment_size 0
		.amdhsa_wavefront_size32 1
		.amdhsa_uses_dynamic_stack 0
		.amdhsa_system_sgpr_private_segment_wavefront_offset 0
		.amdhsa_system_sgpr_workgroup_id_x 1
		.amdhsa_system_sgpr_workgroup_id_y 0
		.amdhsa_system_sgpr_workgroup_id_z 0
		.amdhsa_system_sgpr_workgroup_info 0
		.amdhsa_system_vgpr_workitem_id 0
		.amdhsa_next_free_vgpr 183
		.amdhsa_next_free_sgpr 55
		.amdhsa_reserve_vcc 1
		.amdhsa_reserve_flat_scratch 0
		.amdhsa_float_round_mode_32 0
		.amdhsa_float_round_mode_16_64 0
		.amdhsa_float_denorm_mode_32 3
		.amdhsa_float_denorm_mode_16_64 3
		.amdhsa_dx10_clamp 1
		.amdhsa_ieee_mode 1
		.amdhsa_fp16_overflow 0
		.amdhsa_workgroup_processor_mode 1
		.amdhsa_memory_ordered 1
		.amdhsa_forward_progress 0
		.amdhsa_shared_vgpr_count 0
		.amdhsa_exception_fp_ieee_invalid_op 0
		.amdhsa_exception_fp_denorm_src 0
		.amdhsa_exception_fp_ieee_div_zero 0
		.amdhsa_exception_fp_ieee_overflow 0
		.amdhsa_exception_fp_ieee_underflow 0
		.amdhsa_exception_fp_ieee_inexact 0
		.amdhsa_exception_int_div_zero 0
	.end_amdhsa_kernel
	.text
.Lfunc_end0:
	.size	fft_rtc_back_len169_factors_13_13_wgs_156_tpt_13_dp_op_CI_CI_sbcc_dirReg_intrinsicRead, .Lfunc_end0-fft_rtc_back_len169_factors_13_13_wgs_156_tpt_13_dp_op_CI_CI_sbcc_dirReg_intrinsicRead
                                        ; -- End function
	.section	.AMDGPU.csdata,"",@progbits
; Kernel info:
; codeLenInByte = 10708
; NumSgprs: 57
; NumVgprs: 183
; ScratchSize: 0
; MemoryBound: 0
; FloatMode: 240
; IeeeMode: 1
; LDSByteSize: 0 bytes/workgroup (compile time only)
; SGPRBlocks: 7
; VGPRBlocks: 22
; NumSGPRsForWavesPerEU: 57
; NumVGPRsForWavesPerEU: 183
; Occupancy: 5
; WaveLimiterHint : 1
; COMPUTE_PGM_RSRC2:SCRATCH_EN: 0
; COMPUTE_PGM_RSRC2:USER_SGPR: 6
; COMPUTE_PGM_RSRC2:TRAP_HANDLER: 0
; COMPUTE_PGM_RSRC2:TGID_X_EN: 1
; COMPUTE_PGM_RSRC2:TGID_Y_EN: 0
; COMPUTE_PGM_RSRC2:TGID_Z_EN: 0
; COMPUTE_PGM_RSRC2:TIDIG_COMP_CNT: 0
	.text
	.p2alignl 6, 3214868480
	.fill 48, 4, 3214868480
	.type	__hip_cuid_69bdc8dd183b9f85,@object ; @__hip_cuid_69bdc8dd183b9f85
	.section	.bss,"aw",@nobits
	.globl	__hip_cuid_69bdc8dd183b9f85
__hip_cuid_69bdc8dd183b9f85:
	.byte	0                               ; 0x0
	.size	__hip_cuid_69bdc8dd183b9f85, 1

	.ident	"AMD clang version 19.0.0git (https://github.com/RadeonOpenCompute/llvm-project roc-6.4.0 25133 c7fe45cf4b819c5991fe208aaa96edf142730f1d)"
	.section	".note.GNU-stack","",@progbits
	.addrsig
	.addrsig_sym __hip_cuid_69bdc8dd183b9f85
	.amdgpu_metadata
---
amdhsa.kernels:
  - .args:
      - .actual_access:  read_only
        .address_space:  global
        .offset:         0
        .size:           8
        .value_kind:     global_buffer
      - .address_space:  global
        .offset:         8
        .size:           8
        .value_kind:     global_buffer
      - .offset:         16
        .size:           8
        .value_kind:     by_value
      - .actual_access:  read_only
        .address_space:  global
        .offset:         24
        .size:           8
        .value_kind:     global_buffer
      - .actual_access:  read_only
        .address_space:  global
        .offset:         32
        .size:           8
        .value_kind:     global_buffer
      - .actual_access:  read_only
        .address_space:  global
        .offset:         40
        .size:           8
        .value_kind:     global_buffer
      - .offset:         48
        .size:           8
        .value_kind:     by_value
      - .actual_access:  read_only
        .address_space:  global
        .offset:         56
        .size:           8
        .value_kind:     global_buffer
      - .actual_access:  read_only
        .address_space:  global
        .offset:         64
        .size:           8
        .value_kind:     global_buffer
      - .offset:         72
        .size:           4
        .value_kind:     by_value
      - .actual_access:  read_only
        .address_space:  global
        .offset:         80
        .size:           8
        .value_kind:     global_buffer
      - .actual_access:  read_only
        .address_space:  global
        .offset:         88
        .size:           8
        .value_kind:     global_buffer
      - .address_space:  global
        .offset:         96
        .size:           8
        .value_kind:     global_buffer
      - .actual_access:  write_only
        .address_space:  global
        .offset:         104
        .size:           8
        .value_kind:     global_buffer
    .group_segment_fixed_size: 0
    .kernarg_segment_align: 8
    .kernarg_segment_size: 112
    .language:       OpenCL C
    .language_version:
      - 2
      - 0
    .max_flat_workgroup_size: 156
    .name:           fft_rtc_back_len169_factors_13_13_wgs_156_tpt_13_dp_op_CI_CI_sbcc_dirReg_intrinsicRead
    .private_segment_fixed_size: 0
    .sgpr_count:     57
    .sgpr_spill_count: 0
    .symbol:         fft_rtc_back_len169_factors_13_13_wgs_156_tpt_13_dp_op_CI_CI_sbcc_dirReg_intrinsicRead.kd
    .uniform_work_group_size: 1
    .uses_dynamic_stack: false
    .vgpr_count:     183
    .vgpr_spill_count: 0
    .wavefront_size: 32
    .workgroup_processor_mode: 1
amdhsa.target:   amdgcn-amd-amdhsa--gfx1030
amdhsa.version:
  - 1
  - 2
...

	.end_amdgpu_metadata
